;; amdgpu-corpus repo=zjin-lcf/HeCBench kind=compiled arch=gfx1250 opt=O3
	.amdgcn_target "amdgcn-amd-amdhsa--gfx1250"
	.amdhsa_code_object_version 6
	.text
	.protected	_Z12sneaky_snakePKjS0_Piii ; -- Begin function _Z12sneaky_snakePKjS0_Piii
	.globl	_Z12sneaky_snakePKjS0_Piii
	.p2align	8
	.type	_Z12sneaky_snakePKjS0_Piii,@function
_Z12sneaky_snakePKjS0_Piii:             ; @_Z12sneaky_snakePKjS0_Piii
; %bb.0:
	s_clause 0x1
	s_load_b32 s2, s[0:1], 0x2c
	s_load_b64 s[4:5], s[0:1], 0x18
	s_bfe_u32 s3, ttmp6, 0x4000c
	s_and_b32 s6, ttmp6, 15
	s_add_co_i32 s3, s3, 1
	s_getreg_b32 s7, hwreg(HW_REG_IB_STS2, 6, 4)
	s_mul_i32 s3, ttmp9, s3
	s_delay_alu instid0(SALU_CYCLE_1) | instskip(SKIP_4) | instid1(SALU_CYCLE_1)
	s_add_co_i32 s6, s6, s3
	s_wait_kmcnt 0x0
	s_and_b32 s2, s2, 0xffff
	s_cmp_eq_u32 s7, 0
	s_cselect_b32 s3, ttmp9, s6
	v_mad_u32 v18, s3, s2, v0
	s_delay_alu instid0(VALU_DEP_1)
	v_cmp_gt_i32_e32 vcc_lo, s4, v18
	s_mov_b32 s4, 0
	s_and_saveexec_b32 s2, vcc_lo
	s_cbranch_execz .LBB0_57
; %bb.1:
	s_load_b128 s[8:11], s[0:1], 0x0
	v_dual_lshlrev_b32 v0, 3, v18 :: v_dual_ashrrev_i32 v19, 31, v18
	s_wait_xcnt 0x0
	s_load_b64 s[0:1], s[0:1], 0x10
	v_dual_mov_b32 v22, 0 :: v_dual_mov_b32 v23, 0
	s_delay_alu instid0(VALU_DEP_2) | instskip(SKIP_2) | instid1(VALU_DEP_2)
	v_dual_mov_b32 v24, 0 :: v_dual_ashrrev_i32 v1, 31, v0
	v_mov_b32_e32 v25, 0
	s_cmp_gt_i32 s5, 0
	v_lshlrev_b64_e32 v[0:1], 2, v[0:1]
	s_wait_kmcnt 0x0
	s_delay_alu instid0(VALU_DEP_1)
	v_add_nc_u64_e32 v[16:17], s[8:9], v[0:1]
	v_add_nc_u64_e32 v[20:21], s[10:11], v[0:1]
	s_cselect_b32 s8, -1, 0
                                        ; implicit-def: $sgpr9
                                        ; implicit-def: $sgpr10
	s_clause 0x1
	global_load_b128 v[0:3], v[16:17], off offset:16
	global_load_b128 v[4:7], v[16:17], off
	s_clause 0x1
	global_load_b128 v[8:11], v[20:21], off offset:16
	global_load_b128 v[12:15], v[20:21], off
	s_wait_xcnt 0x2
	v_lshl_add_u64 v[16:17], v[18:19], 2, s[0:1]
	v_mov_b32_e32 v19, 1
	global_store_b32 v18, v19, s[0:1] scale_offset
	s_branch .LBB0_4
.LBB0_2:                                ;   in Loop: Header=BB0_4 Depth=1
	s_or_b32 exec_lo, exec_lo, s6
	s_delay_alu instid0(SALU_CYCLE_1) | instskip(SKIP_1) | instid1(SALU_CYCLE_1)
	s_and_not1_b32 s1, s10, exec_lo
	s_and_b32 s2, s2, exec_lo
	s_or_b32 s10, s1, s2
	s_or_not1_b32 s2, s0, exec_lo
.LBB0_3:                                ;   in Loop: Header=BB0_4 Depth=1
	s_or_b32 exec_lo, exec_lo, s3
	s_delay_alu instid0(SALU_CYCLE_1) | instskip(NEXT) | instid1(SALU_CYCLE_1)
	s_and_b32 s0, exec_lo, s2
	s_or_b32 s4, s0, s4
	s_and_not1_b32 s0, s9, exec_lo
	s_and_b32 s1, s10, exec_lo
	s_delay_alu instid0(SALU_CYCLE_1)
	s_or_b32 s9, s0, s1
	s_and_not1_b32 exec_lo, exec_lo, s4
	s_cbranch_execz .LBB0_55
.LBB0_4:                                ; =>This Loop Header: Depth=1
                                        ;     Child Loop BB0_6 Depth 2
                                        ;       Child Loop BB0_15 Depth 3
                                        ;       Child Loop BB0_19 Depth 3
                                        ;     Child Loop BB0_26 Depth 2
                                        ;       Child Loop BB0_30 Depth 3
                                        ;       Child Loop BB0_36 Depth 3
	;; [unrolled: 1-line block ×3, first 2 shown]
	v_cmp_eq_u32_e32 vcc_lo, 1, v22
	s_wait_xcnt 0x0
	v_cmp_eq_u32_e64 s0, 2, v22
	v_dual_add_nc_u32 v26, 1, v22 :: v_dual_sub_nc_u32 v27, 32, v23
	s_wait_loadcnt 0x0
	v_cndmask_b32_e32 v18, v12, v13, vcc_lo
	s_delay_alu instid0(VALU_DEP_2) | instskip(SKIP_2) | instid1(VALU_DEP_3)
	v_cmp_eq_u32_e64 s1, 1, v26
	v_cmp_eq_u32_e64 s2, 2, v26
	;; [unrolled: 1-line block ×3, first 2 shown]
	v_dual_cndmask_b32 v18, v18, v14, s0 :: v_dual_cndmask_b32 v19, v12, v13, s1
	v_cndmask_b32_e32 v20, v4, v5, vcc_lo
	v_cmp_eq_u32_e32 vcc_lo, 3, v22
	v_cndmask_b32_e64 v21, v4, v5, s1
	v_cmp_eq_u32_e64 s1, 3, v26
	v_dual_cndmask_b32 v19, v19, v14, s2 :: v_dual_cndmask_b32 v18, v18, v15, vcc_lo
	v_cndmask_b32_e64 v20, v20, v6, s0
	v_cmp_eq_u32_e64 s0, 4, v22
	s_delay_alu instid0(VALU_DEP_3) | instskip(SKIP_1) | instid1(VALU_DEP_2)
	v_dual_cndmask_b32 v19, v19, v15, s1 :: v_dual_cndmask_b32 v21, v21, v6, s2
	v_cmp_eq_u32_e64 s2, 5, v22
	v_dual_cndmask_b32 v18, v18, v8, s0 :: v_dual_cndmask_b32 v19, v19, v8, s3
	s_delay_alu instid0(VALU_DEP_3) | instskip(SKIP_1) | instid1(VALU_DEP_3)
	v_dual_cndmask_b32 v20, v20, v7, vcc_lo :: v_dual_cndmask_b32 v21, v21, v7, s1
	v_cmp_eq_u32_e32 vcc_lo, 6, v22
	v_cndmask_b32_e64 v18, v18, v9, s2
	v_cmp_eq_u32_e64 s1, 5, v26
	s_delay_alu instid0(VALU_DEP_4) | instskip(SKIP_1) | instid1(VALU_DEP_3)
	v_dual_cndmask_b32 v20, v20, v0, s0 :: v_dual_cndmask_b32 v21, v21, v0, s3
	v_cmp_eq_u32_e64 s3, 6, v26
	v_dual_cndmask_b32 v18, v18, v10, vcc_lo :: v_dual_cndmask_b32 v19, v19, v9, s1
	s_delay_alu instid0(VALU_DEP_3) | instskip(SKIP_2) | instid1(VALU_DEP_4)
	v_dual_cndmask_b32 v20, v20, v1, s2 :: v_dual_cndmask_b32 v21, v21, v1, s1
	v_cmp_eq_u32_e64 s1, 7, v26
	v_cmp_eq_u32_e64 s0, 7, v22
	v_cndmask_b32_e64 v19, v19, v10, s3
	s_delay_alu instid0(VALU_DEP_4) | instskip(SKIP_1) | instid1(VALU_DEP_3)
	v_cndmask_b32_e32 v20, v20, v2, vcc_lo
	v_cmp_ne_u32_e32 vcc_lo, 0, v23
	v_dual_cndmask_b32 v21, v21, v2, s3 :: v_dual_cndmask_b32 v19, v19, v11, s1
	v_cndmask_b32_e32 v27, 0, v27, vcc_lo
	s_delay_alu instid0(VALU_DEP_2) | instskip(SKIP_2) | instid1(VALU_DEP_3)
	v_dual_cndmask_b32 v28, v20, v3, s0 :: v_dual_cndmask_b32 v29, v21, v3, s1
	v_cndmask_b32_e64 v18, v18, v11, s0
	s_and_not1_b32 vcc_lo, exec_lo, s8
	v_lshrrev_b32_e32 v19, v27, v19
	s_delay_alu instid0(VALU_DEP_3) | instskip(SKIP_1) | instid1(VALU_DEP_3)
	v_lshlrev_b32_e32 v20, v23, v28
	v_lshrrev_b32_e32 v21, v27, v29
	v_lshl_or_b32 v30, v18, v23, v19
	s_delay_alu instid0(VALU_DEP_1) | instskip(NEXT) | instid1(VALU_DEP_1)
	v_bitop3_b32 v18, v21, v30, v20 bitop3:0x36
	v_clz_i32_u32_e32 v18, v18
	s_delay_alu instid0(VALU_DEP_1)
	v_min_u32_e32 v27, 32, v18
	s_cbranch_vccnz .LBB0_24
; %bb.5:                                ;   in Loop: Header=BB0_4 Depth=1
	v_add_nc_u32_e32 v18, -1, v22
	s_mov_b32 s3, 1
	v_sub_nc_u32_e32 v21, 2, v23
	s_delay_alu instid0(VALU_DEP_2) | instskip(SKIP_3) | instid1(VALU_DEP_3)
	v_cmp_eq_u32_e32 vcc_lo, 1, v18
	v_cndmask_b32_e32 v19, v4, v5, vcc_lo
	v_cmp_eq_u32_e32 vcc_lo, 2, v18
	v_cmp_eq_u32_e64 s0, 7, v18
	v_cndmask_b32_e32 v19, v19, v6, vcc_lo
	v_cmp_eq_u32_e32 vcc_lo, 3, v18
	s_delay_alu instid0(VALU_DEP_2) | instskip(SKIP_1) | instid1(VALU_DEP_2)
	v_cndmask_b32_e32 v19, v19, v7, vcc_lo
	v_cmp_eq_u32_e32 vcc_lo, 4, v18
	v_cndmask_b32_e32 v19, v19, v0, vcc_lo
	v_cmp_eq_u32_e32 vcc_lo, 5, v18
	s_delay_alu instid0(VALU_DEP_2) | instskip(SKIP_1) | instid1(VALU_DEP_2)
	v_cndmask_b32_e32 v19, v19, v1, vcc_lo
	v_cmp_eq_u32_e32 vcc_lo, 6, v18
	v_cndmask_b32_e32 v19, v19, v2, vcc_lo
	v_cmp_eq_u32_e32 vcc_lo, 0, v22
	s_delay_alu instid0(VALU_DEP_2)
	v_cndmask_b32_e64 v20, v19, v3, s0
	s_xor_b32 s2, vcc_lo, -1
.LBB0_6:                                ;   Parent Loop BB0_4 Depth=1
                                        ; =>  This Loop Header: Depth=2
                                        ;       Child Loop BB0_15 Depth 3
                                        ;       Child Loop BB0_19 Depth 3
	s_lshl_b32 s6, s3, 1
                                        ; implicit-def: $vgpr18
	s_delay_alu instid0(SALU_CYCLE_1) | instskip(SKIP_1) | instid1(SALU_CYCLE_1)
	v_cmp_le_u32_e32 vcc_lo, s6, v23
	s_or_b32 s0, s2, vcc_lo
	s_and_saveexec_b32 s1, s0
	s_delay_alu instid0(SALU_CYCLE_1)
	s_xor_b32 s0, exec_lo, s1
	s_cbranch_execz .LBB0_12
; %bb.7:                                ;   in Loop: Header=BB0_6 Depth=2
	v_subrev_nc_u32_e32 v19, s6, v23
	s_mov_b32 s1, exec_lo
                                        ; implicit-def: $vgpr18
	s_delay_alu instid0(VALU_DEP_1)
	v_cmpx_lt_i32_e32 -1, v19
	s_xor_b32 s1, exec_lo, s1
	s_cbranch_execz .LBB0_9
; %bb.8:                                ;   in Loop: Header=BB0_6 Depth=2
	v_dual_add_nc_u32 v18, -1, v19 :: v_dual_sub_nc_u32 v31, 32, v19
	s_delay_alu instid0(VALU_DEP_1) | instskip(SKIP_1) | instid1(VALU_DEP_3)
	v_cmp_gt_u32_e32 vcc_lo, 31, v18
	v_cndmask_b32_e32 v18, 0, v19, vcc_lo
	v_cndmask_b32_e32 v19, 0, v31, vcc_lo
	s_delay_alu instid0(VALU_DEP_1) | instskip(NEXT) | instid1(VALU_DEP_1)
	v_dual_lshrrev_b32 v19, v19, v29 :: v_dual_lshlrev_b32 v18, v18, v28
	v_bitop3_b32 v18, v18, v30, v19 bitop3:0x36
	s_delay_alu instid0(VALU_DEP_1) | instskip(NEXT) | instid1(VALU_DEP_1)
	v_clz_i32_u32_e32 v18, v18
	v_min_u32_e32 v18, 32, v18
.LBB0_9:                                ;   in Loop: Header=BB0_6 Depth=2
	s_and_not1_saveexec_b32 s1, s1
	s_cbranch_execz .LBB0_11
; %bb.10:                               ;   in Loop: Header=BB0_6 Depth=2
	v_sub_nc_u32_e32 v18, s6, v23
	s_delay_alu instid0(VALU_DEP_1) | instskip(NEXT) | instid1(VALU_DEP_1)
	v_dual_add_nc_u32 v19, -1, v18 :: v_dual_sub_nc_u32 v31, 32, v18
	v_cmp_gt_u32_e32 vcc_lo, 31, v19
	s_delay_alu instid0(VALU_DEP_2) | instskip(NEXT) | instid1(VALU_DEP_1)
	v_cndmask_b32_e32 v19, 0, v31, vcc_lo
	v_dual_cndmask_b32 v18, 0, v18 :: v_dual_lshlrev_b32 v19, v19, v20
	s_delay_alu instid0(VALU_DEP_1) | instskip(NEXT) | instid1(VALU_DEP_1)
	v_lshrrev_b32_e32 v18, v18, v28
	v_bitop3_b32 v18, v19, v30, v18 bitop3:0x36
	s_delay_alu instid0(VALU_DEP_1) | instskip(NEXT) | instid1(VALU_DEP_1)
	v_clz_i32_u32_e32 v18, v18
	v_min_u32_e32 v18, 32, v18
.LBB0_11:                               ;   in Loop: Header=BB0_6 Depth=2
	s_or_b32 exec_lo, exec_lo, s1
.LBB0_12:                               ;   in Loop: Header=BB0_6 Depth=2
	s_and_not1_saveexec_b32 s7, s0
	s_cbranch_execz .LBB0_22
; %bb.13:                               ;   in Loop: Header=BB0_6 Depth=2
	v_dual_mov_b32 v18, 0 :: v_dual_mov_b32 v31, 0
	s_mov_b32 s1, -1
	s_mov_b32 s11, exec_lo
	v_cmpx_lt_u32_e32 1, v21
	s_cbranch_execz .LBB0_17
; %bb.14:                               ;   in Loop: Header=BB0_6 Depth=2
	v_and_b32_e32 v31, -2, v21
	s_mov_b32 s12, 0
	s_mov_b32 s13, 1
	;; [unrolled: 1-line block ×5, first 2 shown]
.LBB0_15:                               ;   Parent Loop BB0_4 Depth=1
                                        ;     Parent Loop BB0_6 Depth=2
                                        ; =>    This Inner Loop Header: Depth=3
	s_lshr_b32 s15, 0x80000000, s14
	s_lshr_b32 s16, 0x80000000, s13
	s_cmp_lt_u32 s13, 31
	v_add_nc_u32_e32 v31, -2, v31
	s_cselect_b32 s17, s16, 1
	s_cmp_lt_u32 s14, 31
	s_cselect_b32 s16, s15, 1
	s_delay_alu instid0(VALU_DEP_1)
	v_cmp_eq_u32_e32 vcc_lo, 0, v31
	s_or_b64 s[0:1], s[16:17], s[0:1]
	s_add_co_i32 s14, s14, 2
	v_mov_b64_e32 v[18:19], s[0:1]
	s_add_co_i32 s13, s13, 2
	s_or_b32 s12, vcc_lo, s12
	s_delay_alu instid0(SALU_CYCLE_1)
	s_and_not1_b32 exec_lo, exec_lo, s12
	s_cbranch_execnz .LBB0_15
; %bb.16:                               ;   in Loop: Header=BB0_6 Depth=2
	s_or_b32 exec_lo, exec_lo, s12
	v_and_b32_e32 v31, -2, v21
	v_or_b32_e32 v18, v18, v19
	s_delay_alu instid0(VALU_DEP_2)
	v_cmp_ne_u32_e32 vcc_lo, v21, v31
	s_or_not1_b32 s1, vcc_lo, exec_lo
.LBB0_17:                               ;   in Loop: Header=BB0_6 Depth=2
	s_or_b32 exec_lo, exec_lo, s11
	s_and_saveexec_b32 s0, s1
	s_cbranch_execz .LBB0_21
; %bb.18:                               ;   in Loop: Header=BB0_6 Depth=2
	v_max_u32_e32 v19, 1, v21
	s_mov_b32 s1, 0
.LBB0_19:                               ;   Parent Loop BB0_4 Depth=1
                                        ;     Parent Loop BB0_6 Depth=2
                                        ; =>    This Inner Loop Header: Depth=3
	v_lshrrev_b32_e64 v32, v31, 0x80000000
	v_cmp_gt_u32_e32 vcc_lo, 31, v31
	s_delay_alu instid0(VALU_DEP_2) | instskip(NEXT) | instid1(VALU_DEP_1)
	v_dual_cndmask_b32 v32, 1, v32 :: v_dual_add_nc_u32 v31, 1, v31
	v_cmp_eq_u32_e32 vcc_lo, v19, v31
	s_delay_alu instid0(VALU_DEP_2) | instskip(SKIP_1) | instid1(SALU_CYCLE_1)
	v_or_b32_e32 v18, v32, v18
	s_or_b32 s1, vcc_lo, s1
	s_and_not1_b32 exec_lo, exec_lo, s1
	s_cbranch_execnz .LBB0_19
; %bb.20:                               ;   in Loop: Header=BB0_6 Depth=2
	s_or_b32 exec_lo, exec_lo, s1
.LBB0_21:                               ;   in Loop: Header=BB0_6 Depth=2
	s_delay_alu instid0(SALU_CYCLE_1) | instskip(SKIP_1) | instid1(VALU_DEP_1)
	s_or_b32 exec_lo, exec_lo, s0
	v_sub_nc_u32_e32 v19, s6, v23
	v_add_nc_u32_e32 v31, -1, v19
	s_delay_alu instid0(VALU_DEP_1) | instskip(SKIP_1) | instid1(VALU_DEP_1)
	v_cmp_gt_u32_e32 vcc_lo, 31, v31
	v_cndmask_b32_e32 v19, 0, v19, vcc_lo
	v_lshrrev_b32_e32 v19, v19, v28
	s_delay_alu instid0(VALU_DEP_1) | instskip(NEXT) | instid1(VALU_DEP_1)
	v_bitop3_b32 v18, v18, v19, v30 bitop3:0xf6
	v_clz_i32_u32_e32 v18, v18
.LBB0_22:                               ;   in Loop: Header=BB0_6 Depth=2
	s_or_b32 exec_lo, exec_lo, s7
	s_delay_alu instid0(VALU_DEP_1)
	v_dual_add_nc_u32 v21, 2, v21 :: v_dual_max_i32 v27, v18, v27
	s_add_co_i32 s0, s3, 1
	s_cmp_eq_u32 s3, s5
	s_cbranch_scc1 .LBB0_24
; %bb.23:                               ;   in Loop: Header=BB0_6 Depth=2
	s_mov_b32 s3, s0
	s_branch .LBB0_6
.LBB0_24:                               ;   in Loop: Header=BB0_4 Depth=1
	s_and_not1_b32 vcc_lo, exec_lo, s8
	s_cbranch_vccnz .LBB0_52
; %bb.25:                               ;   in Loop: Header=BB0_4 Depth=1
	v_add_nc_u32_e32 v20, 2, v22
	v_add_nc_u32_e32 v32, 0xffffff5a, v25
	v_sub_nc_u32_e32 v33, 0xa8, v25
	s_mov_b32 s11, 2
	s_mov_b32 s13, 1
	v_cmp_eq_u32_e32 vcc_lo, 1, v20
	s_mov_b32 s12, 0
	v_dual_add_nc_u32 v31, 32, v25 :: v_dual_mov_b32 v35, v32
	v_cndmask_b32_e32 v18, v4, v5, vcc_lo
	v_cmp_eq_u32_e32 vcc_lo, 2, v20
	v_cmp_eq_u32_e64 s1, 6, v20
	v_cmp_eq_u32_e64 s0, 5, v20
	s_delay_alu instid0(VALU_DEP_4) | instskip(SKIP_1) | instid1(VALU_DEP_2)
	v_cndmask_b32_e32 v18, v18, v6, vcc_lo
	v_cmp_eq_u32_e32 vcc_lo, 3, v20
	v_cndmask_b32_e32 v18, v18, v7, vcc_lo
	v_cmp_eq_u32_e32 vcc_lo, 4, v20
	s_delay_alu instid0(VALU_DEP_2) | instskip(SKIP_1) | instid1(VALU_DEP_2)
	v_cndmask_b32_e32 v18, v18, v0, vcc_lo
	v_cmp_lt_i32_e32 vcc_lo, 4, v22
	v_cndmask_b32_e64 v19, v18, v1, s0
	v_cmp_gt_i32_e64 s0, 0xa9, v25
	v_add_nc_u32_e32 v18, 0xffffff58, v25
	s_delay_alu instid0(VALU_DEP_3) | instskip(SKIP_2) | instid1(VALU_DEP_2)
	v_cndmask_b32_e64 v21, v19, v2, s1
	v_cmp_eq_u32_e64 s1, 7, v20
	v_add_nc_u32_e32 v19, 0xffffff59, v25
	v_cndmask_b32_e64 v34, v21, v3, s1
.LBB0_26:                               ;   Parent Loop BB0_4 Depth=1
                                        ; =>  This Loop Header: Depth=2
                                        ;       Child Loop BB0_30 Depth 3
                                        ;       Child Loop BB0_36 Depth 3
	;; [unrolled: 1-line block ×3, first 2 shown]
	s_lshl_b32 s15, s13, 1
                                        ; implicit-def: $vgpr20
	s_delay_alu instid0(SALU_CYCLE_1) | instskip(NEXT) | instid1(VALU_DEP_1)
	v_add_nc_u32_e32 v36, s15, v23
	v_cmp_gt_u32_e64 s2, 32, v36
	v_cmp_lt_u32_e64 s1, 31, v36
	s_and_saveexec_b32 s3, vcc_lo
	s_delay_alu instid0(SALU_CYCLE_1)
	s_xor_b32 s14, exec_lo, s3
	s_cbranch_execz .LBB0_44
; %bb.27:                               ;   in Loop: Header=BB0_26 Depth=2
                                        ; implicit-def: $vgpr20
	s_and_saveexec_b32 s3, s0
	s_delay_alu instid0(SALU_CYCLE_1)
	s_xor_b32 s16, exec_lo, s3
	s_cbranch_execz .LBB0_33
; %bb.28:                               ;   in Loop: Header=BB0_26 Depth=2
	v_mov_b32_e32 v20, 0
	s_sub_co_i32 s3, 0xc8, s15
	s_mov_b32 s17, exec_lo
	v_cmpx_le_i32_e64 s3, v31
	s_cbranch_execz .LBB0_32
; %bb.29:                               ;   in Loop: Header=BB0_26 Depth=2
	s_mov_b32 s18, 0
	s_mov_b32 s3, 1
	;; [unrolled: 1-line block ×5, first 2 shown]
.LBB0_30:                               ;   Parent Loop BB0_4 Depth=1
                                        ;     Parent Loop BB0_26 Depth=2
                                        ; =>    This Inner Loop Header: Depth=3
	s_add_co_i32 s21, s3, -1
	s_add_co_i32 s20, s18, -1
	s_lshl_b32 s22, 1, s18
	s_lshl_b32 s23, 1, s3
	s_cmp_lt_u32 s21, 31
	s_cselect_b32 s21, s23, 1
	s_cmp_lt_u32 s20, 31
	s_cselect_b32 s20, s22, 1
	s_add_co_i32 s19, s19, -2
	s_add_co_i32 s18, s18, 2
	s_add_co_i32 s3, s3, 2
	s_or_b64 s[6:7], s[20:21], s[6:7]
	s_cmp_lg_u32 s19, 0
	s_cbranch_scc1 .LBB0_30
; %bb.31:                               ;   in Loop: Header=BB0_26 Depth=2
	s_mov_b32 s18, s7
	s_delay_alu instid0(SALU_CYCLE_1) | instskip(NEXT) | instid1(SALU_CYCLE_1)
	s_or_b64 s[6:7], s[6:7], s[18:19]
	v_mov_b32_e32 v20, s6
.LBB0_32:                               ;   in Loop: Header=BB0_26 Depth=2
	s_or_b32 exec_lo, exec_lo, s17
.LBB0_33:                               ;   in Loop: Header=BB0_26 Depth=2
	s_and_not1_saveexec_b32 s6, s16
	s_cbranch_execz .LBB0_43
; %bb.34:                               ;   in Loop: Header=BB0_26 Depth=2
	s_lshl_b32 s3, s12, 1
	s_mov_b32 s16, -1
	v_add_max_i32_e64 v37, v32, s3, v19
	s_mov_b32 s7, exec_lo
	s_delay_alu instid0(VALU_DEP_1) | instskip(NEXT) | instid1(VALU_DEP_1)
	v_dual_mov_b32 v21, v18 :: v_dual_sub_nc_u32 v20, v37, v25
	v_add_nc_u32_e32 v38, 0xa8, v20
	v_mov_b32_e32 v20, 0
	s_delay_alu instid0(VALU_DEP_2)
	v_cmpx_lt_u32_e32 1, v38
	s_cbranch_execz .LBB0_38
; %bb.35:                               ;   in Loop: Header=BB0_26 Depth=2
	v_dual_mov_b32 v39, 0 :: v_dual_max_i32 v20, v35, v19
	s_mov_b32 s16, 0
	s_delay_alu instid0(VALU_DEP_1) | instskip(NEXT) | instid1(VALU_DEP_1)
	v_dual_add_nc_u32 v21, v33, v20 :: v_dual_bitop2_b32 v20, 1, v20 bitop3:0x40
	v_dual_mov_b32 v40, 0 :: v_dual_sub_nc_u32 v41, v21, v20
	v_mov_b64_e32 v[20:21], v[18:19]
.LBB0_36:                               ;   Parent Loop BB0_4 Depth=1
                                        ;     Parent Loop BB0_26 Depth=2
                                        ; =>    This Inner Loop Header: Depth=3
	s_delay_alu instid0(VALU_DEP_1) | instskip(SKIP_3) | instid1(VALU_DEP_4)
	v_dual_add_nc_u32 v42, -1, v21 :: v_dual_add_nc_u32 v44, -1, v20
	v_lshlrev_b32_e64 v43, v21, 1
	v_lshlrev_b32_e64 v45, v20, 1
	v_add_nc_u32_e32 v20, 2, v20
	v_cmp_gt_u32_e64 s3, 31, v42
	s_delay_alu instid0(VALU_DEP_1) | instskip(SKIP_1) | instid1(VALU_DEP_2)
	v_dual_add_nc_u32 v41, -2, v41 :: v_dual_cndmask_b32 v42, 1, v43, s3
	v_cmp_gt_u32_e64 s3, 31, v44
	v_dual_add_nc_u32 v21, 2, v21 :: v_dual_bitop2_b32 v40, v42, v40 bitop3:0x54
	s_delay_alu instid0(VALU_DEP_2) | instskip(NEXT) | instid1(VALU_DEP_4)
	v_cndmask_b32_e64 v43, 1, v45, s3
	v_cmp_eq_u32_e64 s3, 0, v41
	s_delay_alu instid0(VALU_DEP_2) | instskip(SKIP_1) | instid1(SALU_CYCLE_1)
	v_or_b32_e32 v39, v43, v39
	s_or_b32 s16, s3, s16
	s_and_not1_b32 exec_lo, exec_lo, s16
	s_cbranch_execnz .LBB0_36
; %bb.37:                               ;   in Loop: Header=BB0_26 Depth=2
	s_or_b32 exec_lo, exec_lo, s16
	v_and_b32_e32 v20, 1, v37
	s_delay_alu instid0(VALU_DEP_1) | instskip(SKIP_1) | instid1(VALU_DEP_2)
	v_sub_nc_u32_e32 v21, v38, v20
	v_cmp_eq_u32_e64 s3, 1, v20
	v_dual_add_nc_u32 v21, v18, v21 :: v_dual_bitop2_b32 v20, v39, v40 bitop3:0x54
	s_or_not1_b32 s16, s3, exec_lo
.LBB0_38:                               ;   in Loop: Header=BB0_26 Depth=2
	s_or_b32 exec_lo, exec_lo, s7
	s_and_saveexec_b32 s7, s16
	s_cbranch_execz .LBB0_42
; %bb.39:                               ;   in Loop: Header=BB0_26 Depth=2
	v_add_nc_u32_e32 v37, s15, v18
	s_mov_b32 s15, 0
.LBB0_40:                               ;   Parent Loop BB0_4 Depth=1
                                        ;     Parent Loop BB0_26 Depth=2
                                        ; =>    This Inner Loop Header: Depth=3
	v_add_nc_u32_e32 v38, -1, v21
	v_lshlrev_b32_e64 v39, v21, 1
	v_add_nc_u32_e32 v21, 1, v21
	s_delay_alu instid0(VALU_DEP_3) | instskip(NEXT) | instid1(VALU_DEP_1)
	v_cmp_gt_u32_e64 s3, 31, v38
	v_cndmask_b32_e64 v38, 1, v39, s3
	s_delay_alu instid0(VALU_DEP_3) | instskip(NEXT) | instid1(VALU_DEP_2)
	v_cmp_ge_i32_e64 s3, v21, v37
	v_or_b32_e32 v20, v38, v20
	s_or_b32 s15, s3, s15
	s_delay_alu instid0(SALU_CYCLE_1)
	s_and_not1_b32 exec_lo, exec_lo, s15
	s_cbranch_execnz .LBB0_40
; %bb.41:                               ;   in Loop: Header=BB0_26 Depth=2
	s_or_b32 exec_lo, exec_lo, s15
.LBB0_42:                               ;   in Loop: Header=BB0_26 Depth=2
	s_delay_alu instid0(SALU_CYCLE_1)
	s_or_b32 exec_lo, exec_lo, s7
.LBB0_43:                               ;   in Loop: Header=BB0_26 Depth=2
	s_delay_alu instid0(SALU_CYCLE_1) | instskip(SKIP_1) | instid1(VALU_DEP_1)
	s_or_b32 exec_lo, exec_lo, s6
	v_sub_nc_u32_e64 v21, 32, v36 clamp
	v_dual_cndmask_b32 v36, 0, v36, s2 :: v_dual_lshrrev_b32 v21, v21, v29
	s_delay_alu instid0(VALU_DEP_1) | instskip(NEXT) | instid1(VALU_DEP_1)
	v_lshl_or_b32 v21, v28, v36, v21
                                        ; implicit-def: $vgpr36
	v_bitop3_b32 v20, v20, v21, v30 bitop3:0xf6
.LBB0_44:                               ;   in Loop: Header=BB0_26 Depth=2
	s_and_not1_saveexec_b32 s2, s14
	s_cbranch_execz .LBB0_50
; %bb.45:                               ;   in Loop: Header=BB0_26 Depth=2
                                        ; implicit-def: $vgpr20
	s_and_saveexec_b32 s3, s1
	s_delay_alu instid0(SALU_CYCLE_1)
	s_xor_b32 s3, exec_lo, s3
	s_cbranch_execz .LBB0_47
; %bb.46:                               ;   in Loop: Header=BB0_26 Depth=2
	v_and_b32_e32 v20, 31, v36
	s_delay_alu instid0(VALU_DEP_1) | instskip(SKIP_1) | instid1(VALU_DEP_1)
	v_sub_nc_u32_e32 v21, 32, v20
	v_cmp_ne_u32_e64 s1, 0, v20
	v_cndmask_b32_e64 v20, 0, v21, s1
	v_lshlrev_b32_e32 v21, v36, v29
                                        ; implicit-def: $vgpr36
	s_delay_alu instid0(VALU_DEP_2) | instskip(NEXT) | instid1(VALU_DEP_1)
	v_lshrrev_b32_e32 v20, v20, v34
	v_bitop3_b32 v20, v21, v30, v20 bitop3:0x36
.LBB0_47:                               ;   in Loop: Header=BB0_26 Depth=2
	s_and_not1_saveexec_b32 s1, s3
; %bb.48:                               ;   in Loop: Header=BB0_26 Depth=2
	v_alignbit_b32 v20, v28, v29, 1
	v_lshrrev_b32_e32 v21, 1, v28
	v_not_b32_e32 v36, v36
	s_delay_alu instid0(VALU_DEP_1) | instskip(NEXT) | instid1(VALU_DEP_1)
	v_alignbit_b32 v20, v21, v20, v36
	v_xor_b32_e32 v20, v20, v30
; %bb.49:                               ;   in Loop: Header=BB0_26 Depth=2
	s_or_b32 exec_lo, exec_lo, s1
.LBB0_50:                               ;   in Loop: Header=BB0_26 Depth=2
	s_delay_alu instid0(SALU_CYCLE_1) | instskip(NEXT) | instid1(VALU_DEP_1)
	s_or_b32 exec_lo, exec_lo, s2
	v_clz_i32_u32_e32 v20, v20
	v_add_nc_u32_e32 v35, 2, v35
	s_add_co_i32 s1, s13, 1
	s_add_co_i32 s11, s11, 2
	;; [unrolled: 1-line block ×3, first 2 shown]
	v_min_u32_e32 v20, 32, v20
	s_cmp_eq_u32 s13, s5
	s_delay_alu instid0(VALU_DEP_1)
	v_max_i32_e32 v27, v20, v27
	s_cbranch_scc1 .LBB0_52
; %bb.51:                               ;   in Loop: Header=BB0_26 Depth=2
	s_mov_b32 s13, s1
	s_branch .LBB0_26
.LBB0_52:                               ;   in Loop: Header=BB0_4 Depth=1
	v_cmp_ne_u32_e64 s0, 6, v22
	s_delay_alu instid0(VALU_DEP_2) | instskip(SKIP_4) | instid1(SALU_CYCLE_1)
	v_cmp_gt_u32_e64 s1, 8, v27
	s_mov_b32 s2, -1
	s_or_b32 s10, s10, exec_lo
	v_cmp_eq_u32_e32 vcc_lo, 6, v22
	s_or_b32 s0, s0, s1
	s_and_saveexec_b32 s3, s0
	s_cbranch_execz .LBB0_3
; %bb.53:                               ;   in Loop: Header=BB0_4 Depth=1
	v_cmp_gt_u32_e64 s0, 32, v27
	v_cmp_gt_i32_e64 s1, 5, v22
	v_cmp_gt_u32_e64 s2, 8, v27
	s_mov_b32 s6, exec_lo
	s_and_b32 s0, s1, s0
	s_and_b32 s1, vcc_lo, s2
	s_mov_b32 s2, 0
	s_or_b32 s0, s0, s1
	s_delay_alu instid0(SALU_CYCLE_1) | instskip(SKIP_1) | instid1(VALU_DEP_1)
	v_cndmask_b32_e64 v18, 0, 1, s0
	s_mov_b32 s0, -1
	v_add_nc_u32_e32 v24, v24, v18
	s_delay_alu instid0(VALU_DEP_1)
	v_cmpx_ge_i32_e64 s5, v24
	s_cbranch_execz .LBB0_2
; %bb.54:                               ;   in Loop: Header=BB0_4 Depth=1
	v_and_b32_e32 v18, -2, v27
	s_mov_b32 s2, exec_lo
	s_delay_alu instid0(VALU_DEP_1) | instskip(SKIP_1) | instid1(VALU_DEP_2)
	v_dual_add_nc_u32 v19, 2, v18 :: v_dual_add_nc_u32 v20, v18, v23
	v_cmp_eq_u32_e32 vcc_lo, 32, v18
	v_cmp_lt_i32_e64 s0, 29, v20
	s_delay_alu instid0(VALU_DEP_3) | instskip(NEXT) | instid1(VALU_DEP_2)
	v_cndmask_b32_e64 v18, v19, 32, vcc_lo
	v_dual_add_nc_u32 v19, 2, v20 :: v_dual_cndmask_b32 v22, v22, v26, s0
	s_delay_alu instid0(VALU_DEP_1) | instskip(NEXT) | instid1(VALU_DEP_2)
	v_dual_add_nc_u32 v25, v18, v25 :: v_dual_bitop2_b32 v18, 31, v19 bitop3:0x40
	v_cmp_lt_i32_e64 s0, 6, v22
	s_delay_alu instid0(VALU_DEP_2) | instskip(NEXT) | instid1(VALU_DEP_3)
	v_cndmask_b32_e32 v23, v18, v23, vcc_lo
	v_cmp_lt_i32_e64 s1, 0xc7, v25
	s_or_b32 s0, s0, s1
	s_delay_alu instid0(SALU_CYCLE_1)
	s_or_not1_b32 s0, s0, exec_lo
	s_branch .LBB0_2
.LBB0_55:
	s_or_b32 exec_lo, exec_lo, s4
	s_xor_b32 s0, s9, -1
	s_delay_alu instid0(SALU_CYCLE_1) | instskip(NEXT) | instid1(SALU_CYCLE_1)
	s_and_saveexec_b32 s1, s0
	s_xor_b32 s1, exec_lo, s1
	s_cbranch_execz .LBB0_57
; %bb.56:
	v_mov_b32_e32 v0, 0
	global_store_b32 v[16:17], v0, off
.LBB0_57:
	s_endpgm
	.section	.rodata,"a",@progbits
	.p2align	6, 0x0
	.amdhsa_kernel _Z12sneaky_snakePKjS0_Piii
		.amdhsa_group_segment_fixed_size 0
		.amdhsa_private_segment_fixed_size 0
		.amdhsa_kernarg_size 288
		.amdhsa_user_sgpr_count 2
		.amdhsa_user_sgpr_dispatch_ptr 0
		.amdhsa_user_sgpr_queue_ptr 0
		.amdhsa_user_sgpr_kernarg_segment_ptr 1
		.amdhsa_user_sgpr_dispatch_id 0
		.amdhsa_user_sgpr_kernarg_preload_length 0
		.amdhsa_user_sgpr_kernarg_preload_offset 0
		.amdhsa_user_sgpr_private_segment_size 0
		.amdhsa_wavefront_size32 1
		.amdhsa_uses_dynamic_stack 0
		.amdhsa_enable_private_segment 0
		.amdhsa_system_sgpr_workgroup_id_x 1
		.amdhsa_system_sgpr_workgroup_id_y 0
		.amdhsa_system_sgpr_workgroup_id_z 0
		.amdhsa_system_sgpr_workgroup_info 0
		.amdhsa_system_vgpr_workitem_id 0
		.amdhsa_next_free_vgpr 46
		.amdhsa_next_free_sgpr 24
		.amdhsa_named_barrier_count 0
		.amdhsa_reserve_vcc 1
		.amdhsa_float_round_mode_32 0
		.amdhsa_float_round_mode_16_64 0
		.amdhsa_float_denorm_mode_32 3
		.amdhsa_float_denorm_mode_16_64 3
		.amdhsa_fp16_overflow 0
		.amdhsa_memory_ordered 1
		.amdhsa_forward_progress 1
		.amdhsa_inst_pref_size 21
		.amdhsa_round_robin_scheduling 0
		.amdhsa_exception_fp_ieee_invalid_op 0
		.amdhsa_exception_fp_denorm_src 0
		.amdhsa_exception_fp_ieee_div_zero 0
		.amdhsa_exception_fp_ieee_overflow 0
		.amdhsa_exception_fp_ieee_underflow 0
		.amdhsa_exception_fp_ieee_inexact 0
		.amdhsa_exception_int_div_zero 0
	.end_amdhsa_kernel
	.text
.Lfunc_end0:
	.size	_Z12sneaky_snakePKjS0_Piii, .Lfunc_end0-_Z12sneaky_snakePKjS0_Piii
                                        ; -- End function
	.set _Z12sneaky_snakePKjS0_Piii.num_vgpr, 46
	.set _Z12sneaky_snakePKjS0_Piii.num_agpr, 0
	.set _Z12sneaky_snakePKjS0_Piii.numbered_sgpr, 24
	.set _Z12sneaky_snakePKjS0_Piii.num_named_barrier, 0
	.set _Z12sneaky_snakePKjS0_Piii.private_seg_size, 0
	.set _Z12sneaky_snakePKjS0_Piii.uses_vcc, 1
	.set _Z12sneaky_snakePKjS0_Piii.uses_flat_scratch, 0
	.set _Z12sneaky_snakePKjS0_Piii.has_dyn_sized_stack, 0
	.set _Z12sneaky_snakePKjS0_Piii.has_recursion, 0
	.set _Z12sneaky_snakePKjS0_Piii.has_indirect_call, 0
	.section	.AMDGPU.csdata,"",@progbits
; Kernel info:
; codeLenInByte = 2568
; TotalNumSgprs: 26
; NumVgprs: 46
; ScratchSize: 0
; MemoryBound: 1
; FloatMode: 240
; IeeeMode: 1
; LDSByteSize: 0 bytes/workgroup (compile time only)
; SGPRBlocks: 0
; VGPRBlocks: 2
; NumSGPRsForWavesPerEU: 26
; NumVGPRsForWavesPerEU: 46
; NamedBarCnt: 0
; Occupancy: 16
; WaveLimiterHint : 0
; COMPUTE_PGM_RSRC2:SCRATCH_EN: 0
; COMPUTE_PGM_RSRC2:USER_SGPR: 2
; COMPUTE_PGM_RSRC2:TRAP_HANDLER: 0
; COMPUTE_PGM_RSRC2:TGID_X_EN: 1
; COMPUTE_PGM_RSRC2:TGID_Y_EN: 0
; COMPUTE_PGM_RSRC2:TGID_Z_EN: 0
; COMPUTE_PGM_RSRC2:TIDIG_COMP_CNT: 0
	.text
	.p2alignl 7, 3214868480
	.fill 96, 4, 3214868480
	.section	.AMDGPU.gpr_maximums,"",@progbits
	.set amdgpu.max_num_vgpr, 0
	.set amdgpu.max_num_agpr, 0
	.set amdgpu.max_num_sgpr, 0
	.text
	.type	__hip_cuid_9f93a731a11205,@object ; @__hip_cuid_9f93a731a11205
	.section	.bss,"aw",@nobits
	.globl	__hip_cuid_9f93a731a11205
__hip_cuid_9f93a731a11205:
	.byte	0                               ; 0x0
	.size	__hip_cuid_9f93a731a11205, 1

	.ident	"AMD clang version 22.0.0git (https://github.com/RadeonOpenCompute/llvm-project roc-7.2.4 26084 f58b06dce1f9c15707c5f808fd002e18c2accf7e)"
	.section	".note.GNU-stack","",@progbits
	.addrsig
	.addrsig_sym __hip_cuid_9f93a731a11205
	.amdgpu_metadata
---
amdhsa.kernels:
  - .args:
      - .actual_access:  read_only
        .address_space:  global
        .offset:         0
        .size:           8
        .value_kind:     global_buffer
      - .actual_access:  read_only
        .address_space:  global
        .offset:         8
        .size:           8
        .value_kind:     global_buffer
      - .actual_access:  write_only
        .address_space:  global
        .offset:         16
        .size:           8
        .value_kind:     global_buffer
      - .offset:         24
        .size:           4
        .value_kind:     by_value
      - .offset:         28
        .size:           4
        .value_kind:     by_value
      - .offset:         32
        .size:           4
        .value_kind:     hidden_block_count_x
      - .offset:         36
        .size:           4
        .value_kind:     hidden_block_count_y
      - .offset:         40
        .size:           4
        .value_kind:     hidden_block_count_z
      - .offset:         44
        .size:           2
        .value_kind:     hidden_group_size_x
      - .offset:         46
        .size:           2
        .value_kind:     hidden_group_size_y
      - .offset:         48
        .size:           2
        .value_kind:     hidden_group_size_z
      - .offset:         50
        .size:           2
        .value_kind:     hidden_remainder_x
      - .offset:         52
        .size:           2
        .value_kind:     hidden_remainder_y
      - .offset:         54
        .size:           2
        .value_kind:     hidden_remainder_z
      - .offset:         72
        .size:           8
        .value_kind:     hidden_global_offset_x
      - .offset:         80
        .size:           8
        .value_kind:     hidden_global_offset_y
      - .offset:         88
        .size:           8
        .value_kind:     hidden_global_offset_z
      - .offset:         96
        .size:           2
        .value_kind:     hidden_grid_dims
    .group_segment_fixed_size: 0
    .kernarg_segment_align: 8
    .kernarg_segment_size: 288
    .language:       OpenCL C
    .language_version:
      - 2
      - 0
    .max_flat_workgroup_size: 1024
    .name:           _Z12sneaky_snakePKjS0_Piii
    .private_segment_fixed_size: 0
    .sgpr_count:     26
    .sgpr_spill_count: 0
    .symbol:         _Z12sneaky_snakePKjS0_Piii.kd
    .uniform_work_group_size: 1
    .uses_dynamic_stack: false
    .vgpr_count:     46
    .vgpr_spill_count: 0
    .wavefront_size: 32
amdhsa.target:   amdgcn-amd-amdhsa--gfx1250
amdhsa.version:
  - 1
  - 2
...

	.end_amdgpu_metadata
